;; amdgpu-corpus repo=ROCm/rocFFT kind=compiled arch=gfx950 opt=O3
	.text
	.amdgcn_target "amdgcn-amd-amdhsa--gfx950"
	.amdhsa_code_object_version 6
	.protected	fft_rtc_back_len128_factors_16_8_wgs_256_tpt_16_half_op_CI_CI_sbcc_twdbase8_3step_dirReg ; -- Begin function fft_rtc_back_len128_factors_16_8_wgs_256_tpt_16_half_op_CI_CI_sbcc_twdbase8_3step_dirReg
	.globl	fft_rtc_back_len128_factors_16_8_wgs_256_tpt_16_half_op_CI_CI_sbcc_twdbase8_3step_dirReg
	.p2align	8
	.type	fft_rtc_back_len128_factors_16_8_wgs_256_tpt_16_half_op_CI_CI_sbcc_twdbase8_3step_dirReg,@function
fft_rtc_back_len128_factors_16_8_wgs_256_tpt_16_half_op_CI_CI_sbcc_twdbase8_3step_dirReg: ; @fft_rtc_back_len128_factors_16_8_wgs_256_tpt_16_half_op_CI_CI_sbcc_twdbase8_3step_dirReg
; %bb.0:
	s_load_dwordx4 s[4:7], s[0:1], 0x18
	s_load_dwordx2 s[30:31], s[0:1], 0x28
	s_mov_b32 s3, 0
	s_mov_b64 s[22:23], 0
	s_waitcnt lgkmcnt(0)
	s_load_dwordx2 s[26:27], s[4:5], 0x8
	s_waitcnt lgkmcnt(0)
	s_add_u32 s8, s26, -1
	s_addc_u32 s9, s27, -1
	s_lshr_b64 s[8:9], s[8:9], 4
	s_add_u32 s34, s8, 1
	s_addc_u32 s35, s9, 0
	v_mov_b64_e32 v[2:3], s[34:35]
	v_cmp_lt_u64_e32 vcc, s[2:3], v[2:3]
	s_cbranch_vccnz .LBB0_2
; %bb.1:
	v_cvt_f32_u32_e32 v1, s34
	s_sub_i32 s8, 0, s34
	s_mov_b32 s23, s3
	v_rcp_iflag_f32_e32 v1, v1
	s_nop 0
	v_mul_f32_e32 v1, 0x4f7ffffe, v1
	v_cvt_u32_f32_e32 v1, v1
	s_nop 0
	v_readfirstlane_b32 s9, v1
	s_mul_i32 s8, s8, s9
	s_mul_hi_u32 s8, s9, s8
	s_add_i32 s9, s9, s8
	s_mul_hi_u32 s8, s2, s9
	s_mul_i32 s10, s8, s34
	s_sub_i32 s10, s2, s10
	s_add_i32 s9, s8, 1
	s_sub_i32 s11, s10, s34
	s_cmp_ge_u32 s10, s34
	s_cselect_b32 s8, s9, s8
	s_cselect_b32 s10, s11, s10
	s_add_i32 s9, s8, 1
	s_cmp_ge_u32 s10, s34
	s_cselect_b32 s22, s9, s8
.LBB0_2:
	s_mul_i32 s28, s22, s35
	s_mul_hi_u32 s29, s22, s34
	s_add_i32 s29, s29, s28
	s_mul_i32 s28, s22, s34
	s_sub_u32 s36, s2, s28
	s_load_dwordx2 s[20:21], s[0:1], 0x68
	s_load_dwordx4 s[16:19], s[6:7], 0x0
	s_load_dwordx4 s[8:11], s[30:31], 0x0
	s_load_dwordx2 s[24:25], s[0:1], 0x0
	s_load_dwordx4 s[12:15], s[0:1], 0x8
	s_subb_u32 s37, 0, s29
	v_mov_b32_e32 v1, s36
	s_lshl_b64 s[28:29], s[36:37], 4
	v_alignbit_b32 v1, s37, v1, 28
	s_waitcnt lgkmcnt(0)
	v_mul_lo_u32 v2, s18, v1
	s_mul_hi_u32 s33, s18, s28
	v_add_u32_e32 v2, s33, v2
	s_mul_i32 s33, s19, s28
	v_add_u32_e32 v5, s33, v2
	s_mul_i32 s33, s18, s28
	v_mov_b32_e32 v4, s33
	v_mul_lo_u32 v1, s10, v1
	s_mul_hi_u32 s33, s10, s28
	v_add_u32_e32 v1, s33, v1
	s_mul_i32 s33, s11, s28
	v_add_u32_e32 v3, s33, v1
	s_mul_i32 s33, s10, s28
	v_cmp_lt_u64_e64 s[36:37], s[14:15], 3
	v_mov_b32_e32 v2, s33
	s_and_b64 vcc, exec, s[36:37]
	s_cbranch_vccnz .LBB0_11
; %bb.3:
	s_add_u32 s36, s30, 16
	s_addc_u32 s37, s31, 0
	s_add_u32 s38, s6, 16
	s_addc_u32 s39, s7, 0
	s_add_u32 s40, s4, 16
	s_addc_u32 s41, s5, 0
	s_mov_b64 s[42:43], 2
	s_mov_b32 s44, 0
	v_mov_b64_e32 v[6:7], s[14:15]
	s_branch .LBB0_5
.LBB0_4:                                ;   in Loop: Header=BB0_5 Depth=1
	s_mul_i32 s33, s46, s35
	s_mul_hi_u32 s35, s46, s34
	s_add_i32 s33, s35, s33
	s_mul_i32 s35, s47, s34
	s_add_i32 s35, s33, s35
	s_mul_i32 s33, s4, s47
	s_mul_hi_u32 s45, s4, s46
	s_load_dwordx2 s[48:49], s[38:39], 0x0
	s_add_i32 s33, s45, s33
	s_mul_i32 s45, s5, s46
	s_add_i32 s33, s33, s45
	s_mul_i32 s45, s4, s46
	s_sub_u32 s45, s22, s45
	s_subb_u32 s33, s23, s33
	s_waitcnt lgkmcnt(0)
	s_mul_i32 s22, s48, s33
	s_mul_hi_u32 s23, s48, s45
	s_mul_i32 s34, s46, s34
	s_add_i32 s46, s23, s22
	s_load_dwordx2 s[22:23], s[36:37], 0x0
	s_mul_i32 s47, s49, s45
	s_add_i32 s47, s46, s47
	s_mul_i32 s46, s48, s45
	v_lshl_add_u64 v[4:5], s[46:47], 0, v[4:5]
	s_waitcnt lgkmcnt(0)
	s_mul_i32 s33, s22, s33
	s_mul_hi_u32 s46, s22, s45
	s_add_i32 s33, s46, s33
	s_mul_i32 s23, s23, s45
	s_add_i32 s23, s33, s23
	s_add_u32 s42, s42, 1
	s_addc_u32 s43, s43, 0
	s_add_u32 s36, s36, 8
	s_addc_u32 s37, s37, 0
	;; [unrolled: 2-line block ×3, first 2 shown]
	s_mul_i32 s22, s22, s45
	s_add_u32 s40, s40, 8
	v_cmp_ge_u64_e32 vcc, s[42:43], v[6:7]
	v_lshl_add_u64 v[2:3], s[22:23], 0, v[2:3]
	s_addc_u32 s41, s41, 0
	s_mov_b64 s[22:23], s[4:5]
	s_cbranch_vccnz .LBB0_9
.LBB0_5:                                ; =>This Inner Loop Header: Depth=1
	s_load_dwordx2 s[46:47], s[40:41], 0x0
	s_waitcnt lgkmcnt(0)
	s_or_b64 s[4:5], s[22:23], s[46:47]
	s_mov_b32 s45, s5
	s_cmp_lg_u64 s[44:45], 0
	s_cbranch_scc0 .LBB0_7
; %bb.6:                                ;   in Loop: Header=BB0_5 Depth=1
	v_cvt_f32_u32_e32 v1, s46
	v_cvt_f32_u32_e32 v8, s47
	s_sub_u32 s4, 0, s46
	s_subb_u32 s5, 0, s47
	v_fmac_f32_e32 v1, 0x4f800000, v8
	v_rcp_f32_e32 v1, v1
	s_nop 0
	v_mul_f32_e32 v1, 0x5f7ffffc, v1
	v_mul_f32_e32 v8, 0x2f800000, v1
	v_trunc_f32_e32 v8, v8
	v_fmac_f32_e32 v1, 0xcf800000, v8
	v_cvt_u32_f32_e32 v8, v8
	v_cvt_u32_f32_e32 v1, v1
	v_readfirstlane_b32 s33, v8
	v_readfirstlane_b32 s45, v1
	s_mul_i32 s48, s4, s33
	s_mul_hi_u32 s50, s4, s45
	s_mul_i32 s49, s5, s45
	s_add_i32 s48, s50, s48
	s_mul_i32 s51, s4, s45
	s_add_i32 s48, s48, s49
	s_mul_hi_u32 s49, s45, s48
	s_mul_i32 s50, s45, s48
	s_mul_hi_u32 s45, s45, s51
	s_add_u32 s45, s45, s50
	s_addc_u32 s49, 0, s49
	s_mul_hi_u32 s52, s33, s51
	s_mul_i32 s51, s33, s51
	s_add_u32 s45, s45, s51
	s_mul_hi_u32 s50, s33, s48
	s_addc_u32 s45, s49, s52
	s_addc_u32 s49, s50, 0
	s_mul_i32 s48, s33, s48
	s_add_u32 s45, s45, s48
	s_addc_u32 s48, 0, s49
	v_add_co_u32_e32 v1, vcc, s45, v1
	s_cmp_lg_u64 vcc, 0
	s_addc_u32 s33, s33, s48
	v_readfirstlane_b32 s48, v1
	s_mul_i32 s45, s4, s33
	s_mul_hi_u32 s49, s4, s48
	s_add_i32 s45, s49, s45
	s_mul_i32 s5, s5, s48
	s_add_i32 s45, s45, s5
	s_mul_i32 s4, s4, s48
	s_mul_hi_u32 s49, s33, s4
	s_mul_i32 s50, s33, s4
	s_mul_i32 s52, s48, s45
	s_mul_hi_u32 s4, s48, s4
	s_mul_hi_u32 s51, s48, s45
	s_add_u32 s4, s4, s52
	s_addc_u32 s48, 0, s51
	s_add_u32 s4, s4, s50
	s_mul_hi_u32 s5, s33, s45
	s_addc_u32 s4, s48, s49
	s_addc_u32 s5, s5, 0
	s_mul_i32 s45, s33, s45
	s_add_u32 s4, s4, s45
	s_addc_u32 s5, 0, s5
	v_add_co_u32_e32 v1, vcc, s4, v1
	s_cmp_lg_u64 vcc, 0
	s_addc_u32 s4, s33, s5
	v_readfirstlane_b32 s45, v1
	s_mul_i32 s33, s22, s4
	s_mul_hi_u32 s48, s22, s45
	s_mul_hi_u32 s5, s22, s4
	s_add_u32 s33, s48, s33
	s_addc_u32 s5, 0, s5
	s_mul_hi_u32 s49, s23, s45
	s_mul_i32 s45, s23, s45
	s_add_u32 s33, s33, s45
	s_mul_hi_u32 s48, s23, s4
	s_addc_u32 s5, s5, s49
	s_addc_u32 s33, s48, 0
	s_mul_i32 s4, s23, s4
	s_add_u32 s45, s5, s4
	s_addc_u32 s33, 0, s33
	s_mul_i32 s4, s46, s33
	s_mul_hi_u32 s5, s46, s45
	s_add_i32 s4, s5, s4
	s_mul_i32 s5, s47, s45
	s_add_i32 s48, s4, s5
	s_mul_i32 s5, s46, s45
	v_mov_b32_e32 v1, s5
	s_sub_i32 s4, s23, s48
	v_sub_co_u32_e32 v1, vcc, s22, v1
	s_cmp_lg_u64 vcc, 0
	s_subb_u32 s49, s4, s47
	v_subrev_co_u32_e64 v8, s[4:5], s46, v1
	s_cmp_lg_u64 s[4:5], 0
	s_subb_u32 s4, s49, 0
	s_cmp_ge_u32 s4, s47
	v_readfirstlane_b32 s49, v8
	s_cselect_b32 s5, -1, 0
	s_cmp_ge_u32 s49, s46
	s_cselect_b32 s49, -1, 0
	s_cmp_eq_u32 s4, s47
	s_cselect_b32 s4, s49, s5
	s_add_u32 s5, s45, 1
	s_addc_u32 s49, s33, 0
	s_add_u32 s50, s45, 2
	s_addc_u32 s51, s33, 0
	s_cmp_lg_u32 s4, 0
	s_cselect_b32 s4, s50, s5
	s_cselect_b32 s5, s51, s49
	s_cmp_lg_u64 vcc, 0
	s_subb_u32 s48, s23, s48
	s_cmp_ge_u32 s48, s47
	v_readfirstlane_b32 s50, v1
	s_cselect_b32 s49, -1, 0
	s_cmp_ge_u32 s50, s46
	s_cselect_b32 s50, -1, 0
	s_cmp_eq_u32 s48, s47
	s_cselect_b32 s48, s50, s49
	s_cmp_lg_u32 s48, 0
	s_cselect_b32 s5, s5, s33
	s_cselect_b32 s4, s4, s45
	s_cbranch_execnz .LBB0_4
	s_branch .LBB0_8
.LBB0_7:                                ;   in Loop: Header=BB0_5 Depth=1
                                        ; implicit-def: $sgpr4_sgpr5
.LBB0_8:                                ;   in Loop: Header=BB0_5 Depth=1
	v_cvt_f32_u32_e32 v1, s46
	s_sub_i32 s4, 0, s46
	v_rcp_iflag_f32_e32 v1, v1
	s_nop 0
	v_mul_f32_e32 v1, 0x4f7ffffe, v1
	v_cvt_u32_f32_e32 v1, v1
	s_nop 0
	v_readfirstlane_b32 s5, v1
	s_mul_i32 s4, s4, s5
	s_mul_hi_u32 s4, s5, s4
	s_add_i32 s5, s5, s4
	s_mul_hi_u32 s4, s22, s5
	s_mul_i32 s33, s4, s46
	s_sub_i32 s33, s22, s33
	s_add_i32 s5, s4, 1
	s_sub_i32 s45, s33, s46
	s_cmp_ge_u32 s33, s46
	s_cselect_b32 s4, s5, s4
	s_cselect_b32 s33, s45, s33
	s_add_i32 s5, s4, 1
	s_cmp_ge_u32 s33, s46
	s_cselect_b32 s4, s5, s4
	s_mov_b32 s5, s44
	s_branch .LBB0_4
.LBB0_9:
	v_mov_b64_e32 v[6:7], s[34:35]
	v_cmp_lt_u64_e32 vcc, s[2:3], v[6:7]
	s_mov_b64 s[22:23], 0
	s_cbranch_vccnz .LBB0_11
; %bb.10:
	v_cvt_f32_u32_e32 v1, s34
	s_sub_i32 s3, 0, s34
	v_rcp_iflag_f32_e32 v1, v1
	s_nop 0
	v_mul_f32_e32 v1, 0x4f7ffffe, v1
	v_cvt_u32_f32_e32 v1, v1
	s_nop 0
	v_readfirstlane_b32 s4, v1
	s_mul_i32 s3, s3, s4
	s_mul_hi_u32 s3, s4, s3
	s_add_i32 s4, s4, s3
	s_mul_hi_u32 s3, s2, s4
	s_mul_i32 s5, s3, s34
	s_sub_i32 s2, s2, s5
	s_add_i32 s4, s3, 1
	s_sub_i32 s5, s2, s34
	s_cmp_ge_u32 s2, s34
	s_cselect_b32 s3, s4, s3
	s_cselect_b32 s2, s5, s2
	s_add_i32 s4, s3, 1
	s_cmp_ge_u32 s2, s34
	s_cselect_b32 s22, s4, s3
.LBB0_11:
	s_load_dwordx2 s[34:35], s[0:1], 0x60
	s_lshl_b64 s[0:1], s[14:15], 3
	s_add_u32 s2, s6, s0
	s_addc_u32 s3, s7, s1
	s_load_dwordx2 s[2:3], s[2:3], 0x0
	v_mov_b64_e32 v[6:7], s[26:27]
	v_lshrrev_b32_e32 v11, 4, v0
	v_and_b32_e32 v10, 15, v0
	v_or_b32_e32 v21, 8, v11
	s_waitcnt lgkmcnt(0)
	s_mul_i32 s3, s3, s22
	s_mul_hi_u32 s4, s2, s22
	s_add_i32 s3, s4, s3
	s_add_u32 s4, s30, s0
	s_addc_u32 s5, s31, s1
	s_add_u32 s0, s28, 16
	s_addc_u32 s1, s29, 0
	s_mul_i32 s2, s2, s22
	v_cmp_le_u64_e32 vcc, s[0:1], v[6:7]
	s_movk_i32 s0, 0x80
	v_lshl_add_u64 v[4:5], s[2:3], 0, v[4:5]
	v_cmp_gt_u32_e64 s[0:1], s0, v0
	s_and_b64 s[6:7], s[0:1], vcc
	v_lshlrev_b64 v[4:5], 2, v[4:5]
	v_or_b32_e32 v9, 16, v11
	v_or_b32_e32 v20, 24, v11
	;; [unrolled: 1-line block ×7, first 2 shown]
                                        ; implicit-def: $vgpr12
                                        ; implicit-def: $vgpr24
                                        ; implicit-def: $vgpr14
                                        ; implicit-def: $vgpr25
                                        ; implicit-def: $vgpr13
                                        ; implicit-def: $vgpr26
                                        ; implicit-def: $vgpr15
                                        ; implicit-def: $vgpr27
                                        ; implicit-def: $vgpr18
                                        ; implicit-def: $vgpr28
                                        ; implicit-def: $vgpr19
                                        ; implicit-def: $vgpr29
                                        ; implicit-def: $vgpr22
                                        ; implicit-def: $vgpr30
                                        ; implicit-def: $vgpr23
                                        ; implicit-def: $vgpr31
	s_and_saveexec_b64 s[2:3], s[6:7]
	s_cbranch_execz .LBB0_13
; %bb.12:
	v_mad_u64_u32 v[0:1], s[6:7], s18, v10, 0
	v_mov_b32_e32 v12, v1
	v_mad_u64_u32 v[12:13], s[6:7], s19, v10, v[12:13]
	v_mov_b32_e32 v1, v12
	;; [unrolled: 2-line block ×4, first 2 shown]
	v_lshl_add_u64 v[14:15], s[34:35], 0, v[4:5]
	v_lshl_add_u64 v[0:1], v[0:1], 2, v[14:15]
	;; [unrolled: 1-line block ×3, first 2 shown]
	v_mad_u64_u32 v[12:13], s[6:7], s16, v21, 0
	v_mov_b32_e32 v14, v13
	v_mad_u64_u32 v[14:15], s[6:7], s17, v21, v[14:15]
	v_mov_b32_e32 v13, v14
	v_lshl_add_u64 v[24:25], v[12:13], 2, v[0:1]
	v_mad_u64_u32 v[12:13], s[6:7], s16, v9, 0
	v_mov_b32_e32 v14, v13
	v_mad_u64_u32 v[14:15], s[6:7], s17, v9, v[14:15]
	v_mov_b32_e32 v13, v14
	v_lshl_add_u64 v[26:27], v[12:13], 2, v[0:1]
	;; [unrolled: 5-line block ×7, first 2 shown]
	v_mad_u64_u32 v[12:13], s[6:7], s16, v6, 0
	v_mov_b32_e32 v14, v13
	v_mad_u64_u32 v[14:15], s[6:7], s17, v6, v[14:15]
	v_mov_b32_e32 v13, v14
	v_or_b32_e32 v15, 0x48, v11
	v_lshl_add_u64 v[38:39], v[12:13], 2, v[0:1]
	v_mad_u64_u32 v[12:13], s[6:7], s16, v15, 0
	v_mov_b32_e32 v14, v13
	v_mad_u64_u32 v[14:15], s[6:7], s17, v15, v[14:15]
	v_mov_b32_e32 v13, v14
	v_or_b32_e32 v15, 0x50, v11
	v_lshl_add_u64 v[40:41], v[12:13], 2, v[0:1]
	;; [unrolled: 6-line block ×6, first 2 shown]
	v_mad_u64_u32 v[12:13], s[6:7], s16, v15, 0
	v_mov_b32_e32 v14, v13
	v_mad_u64_u32 v[14:15], s[6:7], s17, v15, v[14:15]
	v_mov_b32_e32 v13, v14
	v_lshl_add_u64 v[50:51], v[12:13], 2, v[0:1]
	global_load_dword v52, v[36:37], off
	global_load_dword v15, v[34:35], off
	;; [unrolled: 1-line block ×8, first 2 shown]
	v_or_b32_e32 v25, 0x78, v11
	v_mad_u64_u32 v[22:23], s[6:7], s16, v25, 0
	v_mov_b32_e32 v24, v23
	v_mad_u64_u32 v[24:25], s[6:7], s17, v25, v[24:25]
	v_mov_b32_e32 v23, v24
	v_lshl_add_u64 v[0:1], v[22:23], 2, v[0:1]
	global_load_dword v27, v[50:51], off
	global_load_dword v31, v[0:1], off
	;; [unrolled: 1-line block ×8, first 2 shown]
	s_waitcnt vmcnt(11)
	v_alignbit_b32 v22, v53, v53, 16
	s_waitcnt vmcnt(6)
	v_alignbit_b32 v31, v31, v31, 16
	;; [unrolled: 2-line block ×3, first 2 shown]
	v_alignbit_b32 v23, v52, v52, 16
.LBB0_13:
	s_or_b64 exec, exec, s[2:3]
	v_mov_b32_e32 v1, s29
	v_or_b32_e32 v0, s28, v10
	v_cmp_gt_u64_e64 s[2:3], s[26:27], v[0:1]
	s_xor_b64 s[6:7], vcc, -1
	s_and_b64 s[14:15], s[0:1], s[2:3]
	s_and_b64 s[14:15], s[6:7], s[14:15]
	s_and_saveexec_b64 s[6:7], s[14:15]
	s_cbranch_execz .LBB0_15
; %bb.14:
	v_mad_u64_u32 v[12:13], s[14:15], s18, v10, 0
	v_mov_b32_e32 v14, v13
	v_mad_u64_u32 v[14:15], s[14:15], s19, v10, v[14:15]
	v_mov_b32_e32 v13, v14
	;; [unrolled: 2-line block ×3, first 2 shown]
	v_mad_u64_u32 v[18:19], s[14:15], s17, v11, v[18:19]
	v_lshl_add_u64 v[4:5], s[34:35], 0, v[4:5]
	v_mov_b32_e32 v15, v18
	v_lshl_add_u64 v[4:5], v[12:13], 2, v[4:5]
	v_mad_u64_u32 v[12:13], s[14:15], s16, v21, 0
	v_lshl_add_u64 v[22:23], v[14:15], 2, v[4:5]
	v_mov_b32_e32 v14, v13
	v_mad_u64_u32 v[14:15], s[14:15], s17, v21, v[14:15]
	v_mov_b32_e32 v13, v14
	v_lshl_add_u64 v[30:31], v[12:13], 2, v[4:5]
	v_mad_u64_u32 v[12:13], s[14:15], s16, v9, 0
	v_mov_b32_e32 v14, v13
	v_mad_u64_u32 v[14:15], s[14:15], s17, v9, v[14:15]
	v_mov_b32_e32 v13, v14
	v_lshl_add_u64 v[32:33], v[12:13], 2, v[4:5]
	v_mad_u64_u32 v[12:13], s[14:15], s16, v20, 0
	;; [unrolled: 5-line block ×7, first 2 shown]
	v_mov_b32_e32 v14, v13
	v_mad_u64_u32 v[14:15], s[14:15], s17, v6, v[14:15]
	v_mov_b32_e32 v13, v14
	v_or_b32_e32 v1, 0x48, v11
	v_lshl_add_u64 v[40:41], v[12:13], 2, v[4:5]
	v_mad_u64_u32 v[12:13], s[14:15], s16, v1, 0
	v_mov_b32_e32 v14, v13
	v_mad_u64_u32 v[14:15], s[14:15], s17, v1, v[14:15]
	v_mov_b32_e32 v13, v14
	v_or_b32_e32 v1, 0x50, v11
	v_lshl_add_u64 v[42:43], v[12:13], 2, v[4:5]
	v_mad_u64_u32 v[12:13], s[14:15], s16, v1, 0
	;; [unrolled: 6-line block ×7, first 2 shown]
	v_mov_b32_e32 v14, v13
	v_mad_u64_u32 v[14:15], s[14:15], s17, v1, v[14:15]
	v_mov_b32_e32 v13, v14
	v_lshl_add_u64 v[4:5], v[12:13], 2, v[4:5]
	global_load_dword v12, v[22:23], off
	global_load_dword v18, v[30:31], off
	;; [unrolled: 1-line block ×15, first 2 shown]
                                        ; kill: killed $vgpr16_vgpr17
                                        ; kill: killed $vgpr20_vgpr21
                                        ; kill: killed $vgpr44_vgpr45
                                        ; kill: killed $vgpr38_vgpr39
                                        ; kill: killed $vgpr32_vgpr33
                                        ; kill: killed $vgpr50_vgpr51
                                        ; kill: killed $vgpr42_vgpr43
                                        ; kill: killed $vgpr36_vgpr37
                                        ; kill: killed $vgpr30_vgpr31
                                        ; kill: killed $vgpr48_vgpr49
                                        ; kill: killed $vgpr40_vgpr41
                                        ; kill: killed $vgpr34_vgpr35
                                        ; kill: killed $vgpr22_vgpr23
                                        ; kill: killed $vgpr46_vgpr47
                                        ; kill: killed $vgpr4_vgpr5
	global_load_dword v27, v[52:53], off
	s_waitcnt vmcnt(12)
	v_alignbit_b32 v22, v1, v1, 16
	s_waitcnt vmcnt(8)
	v_alignbit_b32 v23, v54, v54, 16
	s_waitcnt vmcnt(7)
	v_alignbit_b32 v31, v55, v55, 16
	s_waitcnt vmcnt(3)
	v_alignbit_b32 v30, v56, v56, 16
.LBB0_15:
	s_or_b64 exec, exec, s[6:7]
	v_lshlrev_b32_e32 v4, 2, v10
	s_and_saveexec_b64 s[6:7], s[0:1]
	s_cbranch_execz .LBB0_17
; %bb.16:
	s_waitcnt vmcnt(1)
	v_pk_add_f16 v1, v18, v28 neg_lo:[0,1] neg_hi:[0,1]
	v_pk_add_f16 v20, v22, v30 neg_lo:[0,1] neg_hi:[0,1]
	s_waitcnt vmcnt(0)
	v_pk_add_f16 v24, v12, v24 neg_lo:[0,1] neg_hi:[0,1]
	v_pk_add_f16 v25, v14, v25 neg_lo:[0,1] neg_hi:[0,1]
	;; [unrolled: 1-line block ×5, first 2 shown]
	v_lshrrev_b32_e32 v16, 16, v1
	v_pk_add_f16 v21, v23, v31 neg_lo:[0,1] neg_hi:[0,1]
	s_movk_i32 s0, 0x39a8
	v_lshrrev_b32_e32 v30, 16, v20
	v_add_f16_sdwa v33, v24, v25 dst_sel:DWORD dst_unused:UNUSED_PAD src0_sel:DWORD src1_sel:WORD_1
	v_lshrrev_b32_e32 v34, 16, v26
	v_add_f16_sdwa v36, v26, v27 dst_sel:DWORD dst_unused:UNUSED_PAD src0_sel:DWORD src1_sel:WORD_1
	v_sub_f16_e32 v17, v16, v5
	v_sub_f16_sdwa v28, v20, v21 dst_sel:DWORD dst_unused:UNUSED_PAD src0_sel:DWORD src1_sel:WORD_1
	v_add_f16_e32 v31, v30, v21
	v_sub_f16_e32 v35, v34, v27
	v_fma_f16 v37, v36, s0, v33
	v_add_f16_sdwa v39, v1, v5 dst_sel:DWORD dst_unused:UNUSED_PAD src0_sel:DWORD src1_sel:WORD_1
	v_lshrrev_b32_e32 v43, 16, v24
	v_fma_f16 v29, v28, s0, v17
	s_mov_b32 s1, 0xb9a8
	v_fma_f16 v37, v35, s0, v37
	v_fma_f16 v40, v31, s0, v39
	v_sub_f16_e32 v44, v43, v25
	v_fma_f16 v29, v31, s1, v29
	v_fma_f16 v38, v33, 2.0, -v37
	v_fma_f16 v40, v28, s0, v40
	v_fma_f16 v45, v35, s0, v44
	v_fma_f16 v30, v30, 2.0, -v31
	v_fma_f16 v31, v34, 2.0, -v35
	;; [unrolled: 1-line block ×6, first 2 shown]
	v_fma_f16 v45, v36, s1, v45
	v_fma_f16 v16, v16, 2.0, -v17
	v_fma_f16 v17, v20, 2.0, -v28
	v_fma_f16 v35, v34, s1, v33
	v_fma_f16 v36, v1, 2.0, -v39
	v_fma_f16 v39, v43, 2.0, -v44
	v_pk_fma_f16 v1, v18, 2.0, v1 op_sel_hi:[1,0,1] neg_lo:[0,0,1] neg_hi:[0,0,1]
	v_pk_fma_f16 v5, v19, 2.0, v5 op_sel_hi:[1,0,1] neg_lo:[0,0,1] neg_hi:[0,0,1]
	;; [unrolled: 1-line block ×4, first 2 shown]
	v_fma_f16 v28, v17, s1, v16
	v_fma_f16 v35, v31, s0, v35
	;; [unrolled: 1-line block ×3, first 2 shown]
	v_pk_add_f16 v5, v1, v5 neg_lo:[0,1] neg_hi:[0,1]
	v_pk_add_f16 v19, v18, v19 neg_lo:[0,1] neg_hi:[0,1]
	v_pk_fma_f16 v12, v12, 2.0, v24 op_sel_hi:[1,0,1] neg_lo:[0,0,1] neg_hi:[0,0,1]
	v_pk_fma_f16 v14, v14, 2.0, v25 op_sel_hi:[1,0,1] neg_lo:[0,0,1] neg_hi:[0,0,1]
	;; [unrolled: 1-line block ×4, first 2 shown]
	v_fma_f16 v28, v30, s1, v28
	v_fma_f16 v30, v30, s1, v36
	;; [unrolled: 1-line block ×3, first 2 shown]
	v_pk_add_f16 v20, v5, v19
	v_pk_add_f16 v21, v5, v19 neg_lo:[0,1] neg_hi:[0,1]
	s_mov_b32 s1, 0xffff
	v_pk_add_f16 v14, v12, v14 neg_lo:[0,1] neg_hi:[0,1]
	v_pk_add_f16 v15, v13, v15 neg_lo:[0,1] neg_hi:[0,1]
	v_bfi_b32 v20, s1, v20, v21
	v_pk_add_f16 v21, v14, v15 op_sel:[0,1] op_sel_hi:[1,0]
	v_pk_add_f16 v22, v14, v15 op_sel:[0,1] op_sel_hi:[1,0] neg_lo:[0,1] neg_hi:[0,1]
	s_movk_i32 s17, 0x361f
	v_bfi_b32 v21, s1, v21, v22
	v_pk_fma_f16 v22, v5, 2.0, v20 op_sel_hi:[1,0,1] neg_lo:[0,0,1] neg_hi:[0,0,1]
	v_pk_fma_f16 v12, v12, 2.0, v14 op_sel_hi:[1,0,1] neg_lo:[0,0,1] neg_hi:[0,0,1]
	;; [unrolled: 1-line block ×5, first 2 shown]
	s_mov_b32 s16, 0xbb64
	v_fma_f16 v17, v17, s0, v30
	v_fma_f16 v34, v28, s17, v31
	v_pk_add_f16 v13, v12, v13 neg_lo:[0,1] neg_hi:[0,1]
	v_pk_add_f16 v5, v1, v5 op_sel:[1,0] op_sel_hi:[0,1] neg_lo:[0,1] neg_hi:[0,1]
	s_movk_i32 s15, 0x3b64
	v_fma_f16 v30, v17, s17, v35
	v_fma_f16 v34, v17, s16, v34
	v_fma_f16 v33, v33, 2.0, -v35
	v_fma_f16 v17, v36, 2.0, -v17
	v_pk_fma_f16 v24, v14, 2.0, v21 op_sel_hi:[1,0,1] neg_lo:[0,0,1] neg_hi:[0,0,1]
	v_pk_add_f16 v14, v13, v5
	v_pk_add_f16 v15, v13, v5 neg_lo:[0,1] neg_hi:[0,1]
	v_pk_fma_f16 v12, v12, 2.0, v13 op_sel_hi:[1,0,1] neg_lo:[0,0,1] neg_hi:[0,0,1]
	v_pk_fma_f16 v1, v1, 2.0, v5 op_sel:[1,0,0] op_sel_hi:[0,0,1] neg_lo:[0,0,1] neg_hi:[0,0,1]
	v_fma_f16 v46, v44, 2.0, -v45
	v_fma_f16 v30, v28, s15, v30
	v_fma_f16 v44, v31, 2.0, -v34
	v_fma_f16 v16, v16, 2.0, -v28
	v_fma_f16 v28, v17, s16, v33
	v_fma_f16 v31, v39, 2.0, -v31
	v_bfi_b32 v14, s1, v14, v15
	v_pk_add_f16 v1, v12, v1 op_sel:[0,1] op_sel_hi:[1,0] neg_lo:[0,1] neg_hi:[0,1]
	s_mov_b32 s14, 0xb61f
	v_fma_f16 v28, v16, s17, v28
	v_fma_f16 v16, v16, s16, v31
	v_pk_fma_f16 v15, v13, 2.0, v14 op_sel_hi:[1,0,1] neg_lo:[0,0,1] neg_hi:[0,0,1]
	v_lshrrev_b32_e32 v5, 16, v12
	v_lshrrev_b32_e32 v13, 16, v1
	v_fma_f16 v42, v41, s14, v38
	v_fma_f16 v16, v17, s14, v16
	v_fma_f16 v5, v5, 2.0, -v13
	v_fma_f16 v42, v32, s15, v42
	v_fma_f16 v32, v32, s14, v46
	v_fma_f16 v43, v35, 2.0, -v30
	v_fma_f16 v33, v33, 2.0, -v28
	;; [unrolled: 1-line block ×3, first 2 shown]
	v_lshlrev_b32_e32 v31, 10, v11
	v_lshlrev_b32_e32 v5, 16, v5
	v_fma_f16 v12, v12, 2.0, -v1
	v_fma_f16 v32, v41, s16, v32
	v_fma_f16 v41, v40, s15, v37
	v_add3_u32 v31, 0, v31, v4
	v_pack_b32_f16 v17, v33, v17
	v_pk_mul_f16 v23, v22, s0 op_sel_hi:[1,0]
	v_pk_fma_f16 v22, v22, s0, v24 op_sel_hi:[1,0,1] neg_lo:[1,0,0] neg_hi:[1,0,0]
	v_pack_b32_f16 v18, v43, v44
	v_or_b32_sdwa v5, v5, v12 dst_sel:DWORD dst_unused:UNUSED_PAD src0_sel:DWORD src1_sel:WORD_0
	v_fma_f16 v41, v29, s17, v41
	v_fma_f16 v29, v29, s15, v45
	v_pk_add_f16 v25, v22, v23 op_sel:[0,1] op_sel_hi:[1,0]
	v_pk_add_f16 v22, v22, v23 op_sel:[0,1] op_sel_hi:[1,0] neg_lo:[0,1] neg_hi:[0,1]
	ds_write2_b32 v31, v15, v18 offset0:64 offset1:80
	v_pk_mul_f16 v15, v20, s0 op_sel_hi:[1,0]
	v_pk_fma_f16 v18, v20, s0, v21 op_sel_hi:[1,0,1]
	ds_write2_b32 v31, v5, v17 offset1:16
	v_pack_b32_f16 v5, v28, v16
	v_fma_f16 v29, v40, s14, v29
	v_bfi_b32 v22, s1, v25, v22
	v_pk_add_f16 v19, v18, v15 op_sel:[0,1] op_sel_hi:[1,0]
	v_pk_add_f16 v15, v18, v15 op_sel:[0,1] op_sel_hi:[1,0] neg_lo:[0,1] neg_hi:[0,1]
	ds_write2_b32 v31, v1, v5 offset0:128 offset1:144
	v_pack_b32_f16 v1, v42, v32
	v_fma_f16 v37, v37, 2.0, -v41
	v_fma_f16 v40, v45, 2.0, -v29
	;; [unrolled: 1-line block ×4, first 2 shown]
	v_bfi_b32 v15, s1, v19, v15
	ds_write2_b32 v31, v22, v1 offset0:160 offset1:176
	v_pack_b32_f16 v1, v30, v34
	v_pk_fma_f16 v23, v24, 2.0, v22 op_sel_hi:[1,0,1] neg_lo:[0,0,1] neg_hi:[0,0,1]
	v_pack_b32_f16 v24, v38, v45
	v_pk_fma_f16 v18, v21, 2.0, v15 op_sel_hi:[1,0,1] neg_lo:[0,0,1] neg_hi:[0,0,1]
	v_pack_b32_f16 v19, v37, v40
	ds_write2_b32 v31, v14, v1 offset0:192 offset1:208
	v_pack_b32_f16 v1, v41, v29
	ds_write2_b32 v31, v23, v24 offset0:32 offset1:48
	ds_write2_b32 v31, v18, v19 offset0:96 offset1:112
	;; [unrolled: 1-line block ×3, first 2 shown]
.LBB0_17:
	s_or_b64 exec, exec, s[6:7]
	s_or_b64 s[0:1], vcc, s[2:3]
	s_waitcnt lgkmcnt(0)
	s_barrier
	s_and_saveexec_b64 s[2:3], s[0:1]
	s_cbranch_execz .LBB0_19
; %bb.18:
	v_mul_u32_u24_e32 v1, 7, v11
	v_lshlrev_b32_e32 v1, 2, v1
	global_load_dwordx4 v[12:15], v1, s[24:25]
	global_load_dwordx3 v[16:18], v1, s[24:25] offset:16
	v_or_b32_e32 v1, 0x70, v11
	v_mov_b32_e32 v19, 2
	v_mul_lo_u32 v5, v0, v1
	v_lshlrev_b32_sdwa v20, v19, v5 dst_sel:DWORD dst_unused:UNUSED_PAD src0_sel:DWORD src1_sel:BYTE_0
	v_lshlrev_b32_sdwa v21, v19, v5 dst_sel:DWORD dst_unused:UNUSED_PAD src0_sel:DWORD src1_sel:BYTE_1
	global_load_dword v26, v20, s[12:13]
	global_load_dword v27, v21, s[12:13] offset:1024
	v_lshlrev_b32_sdwa v5, v19, v5 dst_sel:DWORD dst_unused:UNUSED_PAD src0_sel:DWORD src1_sel:BYTE_2
	global_load_dword v28, v5, s[12:13] offset:2048
	s_waitcnt vmcnt(6)
	v_or_b32_e32 v29, 0x60, v11
	v_lshlrev_b32_e32 v5, 6, v11
	v_or_b32_e32 v30, 0x50, v11
	v_mul_lo_u32 v31, v0, v29
	s_waitcnt vmcnt(5)
	v_add3_u32 v24, 0, v5, v4
	v_mul_lo_u32 v32, v0, v30
	v_lshlrev_b32_sdwa v33, v19, v31 dst_sel:DWORD dst_unused:UNUSED_PAD src0_sel:DWORD src1_sel:BYTE_2
	s_load_dwordx2 s[0:1], s[4:5], 0x0
	ds_read2st64_b32 v[4:5], v24 offset1:4
	ds_read2st64_b32 v[20:21], v24 offset0:16 offset1:20
	ds_read2st64_b32 v[22:23], v24 offset0:8 offset1:12
	;; [unrolled: 1-line block ×3, first 2 shown]
	v_lshlrev_b32_sdwa v34, v19, v31 dst_sel:DWORD dst_unused:UNUSED_PAD src0_sel:DWORD src1_sel:BYTE_0
	v_lshlrev_b32_sdwa v31, v19, v31 dst_sel:DWORD dst_unused:UNUSED_PAD src0_sel:DWORD src1_sel:BYTE_1
	v_lshlrev_b32_sdwa v35, v19, v32 dst_sel:DWORD dst_unused:UNUSED_PAD src0_sel:DWORD src1_sel:BYTE_2
	v_lshlrev_b32_sdwa v36, v19, v32 dst_sel:DWORD dst_unused:UNUSED_PAD src0_sel:DWORD src1_sel:BYTE_0
	global_load_dword v37, v33, s[12:13] offset:2048
	global_load_dword v38, v34, s[12:13]
	global_load_dword v39, v31, s[12:13] offset:1024
	global_load_dword v40, v35, s[12:13] offset:2048
	global_load_dword v41, v36, s[12:13]
	s_waitcnt lgkmcnt(0)
	v_lshrrev_b32_e32 v33, 16, v20
	v_lshrrev_b32_e32 v34, 16, v22
	;; [unrolled: 1-line block ×8, first 2 shown]
	v_lshlrev_b32_sdwa v32, v19, v32 dst_sel:DWORD dst_unused:UNUSED_PAD src0_sel:DWORD src1_sel:BYTE_1
	s_movk_i32 s2, 0x39a8
	global_load_dword v32, v32, s[12:13] offset:1024
	s_mov_b32 s3, 0xb9a8
	s_mul_i32 s1, s1, s22
	s_mul_hi_u32 s4, s0, s22
	s_mul_i32 s0, s0, s22
	s_add_i32 s1, s4, s1
	s_lshl_b64 s[0:1], s[0:1], 2
	s_add_u32 s0, s20, s0
	s_addc_u32 s1, s21, s1
	v_lshlrev_b64 v[2:3], 2, v[2:3]
	v_lshl_add_u64 v[2:3], s[0:1], 0, v[2:3]
	s_waitcnt vmcnt(10)
	v_mul_f16_sdwa v45, v15, v20 dst_sel:DWORD dst_unused:UNUSED_PAD src0_sel:WORD_1 src1_sel:DWORD
	v_fma_f16 v45, v15, v33, -v45
	v_mul_f16_sdwa v33, v15, v33 dst_sel:DWORD dst_unused:UNUSED_PAD src0_sel:WORD_1 src1_sel:DWORD
	v_mul_f16_sdwa v46, v13, v34 dst_sel:DWORD dst_unused:UNUSED_PAD src0_sel:WORD_1 src1_sel:DWORD
	v_fma_f16 v15, v15, v20, v33
	v_mul_f16_sdwa v20, v13, v22 dst_sel:DWORD dst_unused:UNUSED_PAD src0_sel:WORD_1 src1_sel:DWORD
	s_waitcnt vmcnt(9)
	v_mul_f16_sdwa v47, v35, v17 dst_sel:DWORD dst_unused:UNUSED_PAD src0_sel:DWORD src1_sel:WORD_1
	v_mul_f16_sdwa v48, v12, v5 dst_sel:DWORD dst_unused:UNUSED_PAD src0_sel:WORD_1 src1_sel:DWORD
	v_mul_f16_sdwa v49, v16, v21 dst_sel:DWORD dst_unused:UNUSED_PAD src0_sel:WORD_1 src1_sel:DWORD
	;; [unrolled: 1-line block ×3, first 2 shown]
	v_mul_f16_sdwa v51, v44, v18 dst_sel:DWORD dst_unused:UNUSED_PAD src0_sel:DWORD src1_sel:WORD_1
	v_mul_f16_sdwa v52, v12, v36 dst_sel:DWORD dst_unused:UNUSED_PAD src0_sel:WORD_1 src1_sel:DWORD
	v_mul_f16_sdwa v53, v16, v42 dst_sel:DWORD dst_unused:UNUSED_PAD src0_sel:WORD_1 src1_sel:DWORD
	;; [unrolled: 1-line block ×3, first 2 shown]
	v_mul_f16_sdwa v55, v25, v18 dst_sel:DWORD dst_unused:UNUSED_PAD src0_sel:DWORD src1_sel:WORD_1
	v_fma_f16 v46, v13, v22, v46
	v_fma_f16 v13, v13, v34, -v20
	v_mul_f16_sdwa v20, v17, v24 dst_sel:DWORD dst_unused:UNUSED_PAD src0_sel:WORD_1 src1_sel:DWORD
	v_fma_f16 v47, v17, v24, v47
	v_fma_f16 v36, v12, v36, -v48
	v_fma_f16 v42, v16, v42, -v49
	v_fma_f16 v23, v14, v23, v50
	v_fma_f16 v25, v25, v18, v51
	;; [unrolled: 1-line block ×4, first 2 shown]
	v_fma_f16 v14, v14, v43, -v54
	v_fma_f16 v16, v44, v18, -v55
	s_waitcnt vmcnt(8)
	v_lshrrev_b32_e32 v18, 16, v26
	v_fma_f16 v17, v35, v17, -v20
	s_waitcnt vmcnt(7)
	v_mul_f16_sdwa v21, v26, v27 dst_sel:DWORD dst_unused:UNUSED_PAD src0_sel:DWORD src1_sel:WORD_1
	v_sub_f16_e32 v43, v31, v45
	v_sub_f16_e32 v44, v46, v47
	;; [unrolled: 1-line block ×6, first 2 shown]
	v_mul_f16_sdwa v45, v18, v27 dst_sel:DWORD dst_unused:UNUSED_PAD src0_sel:DWORD src1_sel:WORD_1
	v_sub_f16_e32 v15, v4, v15
	v_sub_f16_e32 v17, v13, v17
	v_fma_f16 v18, v18, v27, v21
	v_sub_f16_e32 v21, v43, v44
	v_sub_f16_e32 v47, v42, v25
	v_add_f16_e32 v48, v12, v16
	v_fma_f16 v26, v26, v27, -v45
	v_add_f16_e32 v20, v15, v17
	v_fma_f16 v45, v47, s2, v21
	v_fma_f16 v22, v48, s2, v20
	s_waitcnt vmcnt(6)
	v_mul_f16_sdwa v24, v26, v28 dst_sel:DWORD dst_unused:UNUSED_PAD src0_sel:DWORD src1_sel:WORD_1
	v_mul_f16_sdwa v27, v18, v28 dst_sel:DWORD dst_unused:UNUSED_PAD src0_sel:DWORD src1_sel:WORD_1
	v_fma_f16 v45, v48, s3, v45
	v_fma_f16 v22, v47, s2, v22
	;; [unrolled: 1-line block ×3, first 2 shown]
	v_fma_f16 v27, v28, v26, -v27
	v_mul_f16_e32 v24, v22, v18
	v_mul_f16_e32 v18, v45, v18
	v_fma_f16 v24, v45, v27, -v24
	v_fma_f16 v18, v22, v27, v18
	v_mul_lo_u32 v27, v0, v6
	v_lshlrev_b32_sdwa v28, v19, v27 dst_sel:DWORD dst_unused:UNUSED_PAD src0_sel:DWORD src1_sel:BYTE_2
	v_fma_f16 v26, v31, 2.0, -v43
	v_lshlrev_b32_sdwa v31, v19, v27 dst_sel:DWORD dst_unused:UNUSED_PAD src0_sel:DWORD src1_sel:BYTE_0
	v_lshlrev_b32_sdwa v27, v19, v27 dst_sel:DWORD dst_unused:UNUSED_PAD src0_sel:DWORD src1_sel:BYTE_1
	global_load_dword v33, v28, s[12:13] offset:2048
	global_load_dword v34, v31, s[12:13]
	global_load_dword v35, v27, s[12:13] offset:1024
	v_fma_f16 v13, v13, 2.0, -v17
	v_fma_f16 v17, v23, 2.0, -v25
	s_waitcnt vmcnt(7)
	v_lshrrev_b32_e32 v25, 16, v38
	s_waitcnt vmcnt(6)
	v_mul_f16_sdwa v27, v25, v39 dst_sel:DWORD dst_unused:UNUSED_PAD src0_sel:DWORD src1_sel:WORD_1
	v_mul_lo_u32 v31, v0, v7
	v_fma_f16 v27, v38, v39, -v27
	v_mul_f16_sdwa v28, v38, v39 dst_sel:DWORD dst_unused:UNUSED_PAD src0_sel:DWORD src1_sel:WORD_1
	v_lshlrev_b32_sdwa v38, v19, v31 dst_sel:DWORD dst_unused:UNUSED_PAD src0_sel:DWORD src1_sel:BYTE_2
	v_lshlrev_b32_sdwa v49, v19, v31 dst_sel:DWORD dst_unused:UNUSED_PAD src0_sel:DWORD src1_sel:BYTE_0
	v_lshlrev_b32_sdwa v31, v19, v31 dst_sel:DWORD dst_unused:UNUSED_PAD src0_sel:DWORD src1_sel:BYTE_1
	global_load_dword v50, v38, s[12:13] offset:2048
	global_load_dword v51, v49, s[12:13]
	global_load_dword v52, v31, s[12:13] offset:1024
	v_fma_f16 v25, v25, v39, v28
	v_mul_lo_u32 v38, v0, v8
	v_mul_f16_sdwa v28, v25, v37 dst_sel:DWORD dst_unused:UNUSED_PAD src0_sel:DWORD src1_sel:WORD_1
	v_lshlrev_b32_sdwa v39, v19, v38 dst_sel:DWORD dst_unused:UNUSED_PAD src0_sel:DWORD src1_sel:BYTE_0
	v_fma_f16 v28, v37, v27, -v28
	v_fma_f16 v31, v46, 2.0, -v44
	v_lshlrev_b32_sdwa v44, v19, v38 dst_sel:DWORD dst_unused:UNUSED_PAD src0_sel:DWORD src1_sel:BYTE_1
	global_load_dword v46, v39, s[12:13]
	global_load_dword v49, v44, s[12:13] offset:1024
	v_mul_f16_sdwa v27, v27, v37 dst_sel:DWORD dst_unused:UNUSED_PAD src0_sel:DWORD src1_sel:WORD_1
	v_fma_f16 v5, v5, 2.0, -v12
	v_fma_f16 v4, v4, 2.0, -v15
	;; [unrolled: 1-line block ×4, first 2 shown]
	v_fma_f16 v25, v37, v25, v27
	v_lshlrev_b32_sdwa v27, v19, v38 dst_sel:DWORD dst_unused:UNUSED_PAD src0_sel:DWORD src1_sel:BYTE_2
	v_sub_f16_e32 v13, v26, v13
	v_sub_f16_e32 v17, v5, v17
	;; [unrolled: 1-line block ×4, first 2 shown]
	global_load_dword v27, v27, s[12:13] offset:2048
	v_sub_f16_e32 v23, v13, v17
	v_add_f16_e32 v16, v31, v14
	v_mul_f16_e32 v37, v16, v25
	v_mul_f16_e32 v25, v23, v25
	v_fma_f16 v37, v23, v28, -v37
	v_fma_f16 v25, v16, v28, v25
	v_mul_lo_u32 v28, v0, v9
	v_lshlrev_b32_sdwa v38, v19, v28 dst_sel:DWORD dst_unused:UNUSED_PAD src0_sel:DWORD src1_sel:BYTE_2
	v_lshlrev_b32_sdwa v39, v19, v28 dst_sel:DWORD dst_unused:UNUSED_PAD src0_sel:DWORD src1_sel:BYTE_0
	v_lshlrev_b32_sdwa v28, v19, v28 dst_sel:DWORD dst_unused:UNUSED_PAD src0_sel:DWORD src1_sel:BYTE_1
	global_load_dword v44, v38, s[12:13] offset:2048
	global_load_dword v53, v39, s[12:13]
	global_load_dword v54, v28, s[12:13] offset:1024
	v_mul_lo_u32 v0, v0, v11
	v_fma_f16 v38, v42, 2.0, -v47
	v_lshlrev_b32_sdwa v47, v19, v0 dst_sel:DWORD dst_unused:UNUSED_PAD src0_sel:DWORD src1_sel:BYTE_2
	v_fma_f16 v12, v12, 2.0, -v48
	v_lshlrev_b32_sdwa v48, v19, v0 dst_sel:DWORD dst_unused:UNUSED_PAD src0_sel:DWORD src1_sel:BYTE_0
	v_lshlrev_b32_sdwa v0, v19, v0 dst_sel:DWORD dst_unused:UNUSED_PAD src0_sel:DWORD src1_sel:BYTE_1
	global_load_dword v19, v47, s[12:13] offset:2048
	global_load_dword v55, v48, s[12:13]
	global_load_dword v56, v0, s[12:13] offset:1024
	v_fma_f16 v28, v43, 2.0, -v21
	s_waitcnt vmcnt(16)
	v_lshrrev_b32_e32 v42, 16, v41
	v_fma_f16 v39, v38, s3, v28
	s_waitcnt vmcnt(15)
	v_mul_f16_sdwa v43, v42, v32 dst_sel:DWORD dst_unused:UNUSED_PAD src0_sel:DWORD src1_sel:WORD_1
	v_fma_f16 v15, v15, 2.0, -v20
	v_fma_f16 v39, v12, s3, v39
	v_fma_f16 v43, v41, v32, -v43
	v_mul_f16_sdwa v0, v41, v32 dst_sel:DWORD dst_unused:UNUSED_PAD src0_sel:DWORD src1_sel:WORD_1
	v_fma_f16 v12, v12, s3, v15
	v_fma_f16 v0, v42, v32, v0
	;; [unrolled: 1-line block ×3, first 2 shown]
	v_mul_f16_sdwa v38, v43, v40 dst_sel:DWORD dst_unused:UNUSED_PAD src0_sel:DWORD src1_sel:WORD_1
	v_mul_f16_sdwa v32, v0, v40 dst_sel:DWORD dst_unused:UNUSED_PAD src0_sel:DWORD src1_sel:WORD_1
	v_fma_f16 v0, v40, v0, v38
	v_fma_f16 v32, v40, v43, -v32
	v_mul_f16_e32 v38, v12, v0
	v_mul_f16_e32 v0, v39, v0
	v_fma_f16 v38, v39, v32, -v38
	v_fma_f16 v32, v12, v32, v0
	v_fma_f16 v0, v26, 2.0, -v13
	v_fma_f16 v14, v36, 2.0, -v14
	;; [unrolled: 1-line block ×4, first 2 shown]
	v_sub_f16_e32 v14, v0, v14
	v_sub_f16_e32 v5, v4, v5
	v_fma_f16 v20, v20, 2.0, -v22
	v_fma_f16 v21, v21, 2.0, -v45
	;; [unrolled: 1-line block ×4, first 2 shown]
	s_waitcnt vmcnt(13)
	v_lshrrev_b32_e32 v26, 16, v34
	s_waitcnt vmcnt(12)
	v_mul_f16_sdwa v36, v26, v35 dst_sel:DWORD dst_unused:UNUSED_PAD src0_sel:DWORD src1_sel:WORD_1
	v_fma_f16 v36, v34, v35, -v36
	v_mul_f16_sdwa v34, v34, v35 dst_sel:DWORD dst_unused:UNUSED_PAD src0_sel:DWORD src1_sel:WORD_1
	v_fma_f16 v26, v26, v35, v34
	v_mul_f16_sdwa v17, v36, v33 dst_sel:DWORD dst_unused:UNUSED_PAD src0_sel:DWORD src1_sel:WORD_1
	v_mul_f16_sdwa v34, v26, v33 dst_sel:DWORD dst_unused:UNUSED_PAD src0_sel:DWORD src1_sel:WORD_1
	v_fma_f16 v17, v33, v26, v17
	v_fma_f16 v34, v33, v36, -v34
	v_mul_f16_e32 v26, v5, v17
	v_mul_f16_e32 v17, v14, v17
	s_waitcnt vmcnt(10)
	v_lshrrev_b32_e32 v33, 16, v51
	v_fma_f16 v26, v14, v34, -v26
	v_fma_f16 v17, v5, v34, v17
	s_waitcnt vmcnt(9)
	v_mul_f16_sdwa v34, v33, v52 dst_sel:DWORD dst_unused:UNUSED_PAD src0_sel:DWORD src1_sel:WORD_1
	v_fma_f16 v34, v51, v52, -v34
	v_mul_f16_sdwa v35, v51, v52 dst_sel:DWORD dst_unused:UNUSED_PAD src0_sel:DWORD src1_sel:WORD_1
	v_fma_f16 v33, v33, v52, v35
	v_mul_f16_sdwa v22, v34, v50 dst_sel:DWORD dst_unused:UNUSED_PAD src0_sel:DWORD src1_sel:WORD_1
	v_mul_f16_sdwa v35, v33, v50 dst_sel:DWORD dst_unused:UNUSED_PAD src0_sel:DWORD src1_sel:WORD_1
	v_fma_f16 v22, v50, v33, v22
	v_fma_f16 v35, v50, v34, -v35
	v_mul_f16_e32 v33, v20, v22
	v_fma_f16 v33, v21, v35, -v33
	v_mul_f16_e32 v21, v21, v22
	v_fma_f16 v20, v20, v35, v21
	s_waitcnt vmcnt(8)
	v_lshrrev_b32_e32 v21, 16, v46
	s_waitcnt vmcnt(7)
	v_mul_f16_sdwa v23, v46, v49 dst_sel:DWORD dst_unused:UNUSED_PAD src0_sel:DWORD src1_sel:WORD_1
	v_mul_f16_sdwa v22, v21, v49 dst_sel:DWORD dst_unused:UNUSED_PAD src0_sel:DWORD src1_sel:WORD_1
	v_fma_f16 v21, v21, v49, v23
	v_fma_f16 v22, v46, v49, -v22
	v_fma_f16 v12, v15, 2.0, -v12
	s_waitcnt vmcnt(6)
	v_mul_f16_sdwa v23, v21, v27 dst_sel:DWORD dst_unused:UNUSED_PAD src0_sel:DWORD src1_sel:WORD_1
	v_fma_f16 v23, v27, v22, -v23
	v_mul_f16_sdwa v22, v22, v27 dst_sel:DWORD dst_unused:UNUSED_PAD src0_sel:DWORD src1_sel:WORD_1
	v_fma_f16 v21, v27, v21, v22
	v_mul_f16_e32 v22, v16, v21
	v_fma_f16 v22, v13, v23, -v22
	v_mul_f16_e32 v13, v13, v21
	v_fma_f16 v16, v16, v23, v13
	v_fma_f16 v13, v28, 2.0, -v39
	v_fma_f16 v0, v0, 2.0, -v14
	s_waitcnt vmcnt(4)
	v_lshrrev_b32_e32 v21, 16, v53
	s_waitcnt vmcnt(3)
	v_mul_f16_sdwa v23, v21, v54 dst_sel:DWORD dst_unused:UNUSED_PAD src0_sel:DWORD src1_sel:WORD_1
	v_fma_f16 v23, v53, v54, -v23
	v_mul_f16_sdwa v27, v53, v54 dst_sel:DWORD dst_unused:UNUSED_PAD src0_sel:DWORD src1_sel:WORD_1
	v_fma_f16 v21, v21, v54, v27
	v_mul_f16_sdwa v15, v23, v44 dst_sel:DWORD dst_unused:UNUSED_PAD src0_sel:DWORD src1_sel:WORD_1
	v_mul_f16_sdwa v27, v21, v44 dst_sel:DWORD dst_unused:UNUSED_PAD src0_sel:DWORD src1_sel:WORD_1
	v_fma_f16 v15, v44, v21, v15
	v_fma_f16 v27, v44, v23, -v27
	v_mul_f16_e32 v21, v12, v15
	v_fma_f16 v21, v13, v27, -v21
	v_mul_f16_e32 v13, v13, v15
	v_fma_f16 v15, v12, v27, v13
	s_waitcnt vmcnt(1)
	v_lshrrev_b32_e32 v12, 16, v55
	s_waitcnt vmcnt(0)
	v_mul_f16_sdwa v13, v12, v56 dst_sel:DWORD dst_unused:UNUSED_PAD src0_sel:DWORD src1_sel:WORD_1
	v_fma_f16 v13, v55, v56, -v13
	v_mul_f16_sdwa v14, v55, v56 dst_sel:DWORD dst_unused:UNUSED_PAD src0_sel:DWORD src1_sel:WORD_1
	v_fma_f16 v12, v12, v56, v14
	v_fma_f16 v4, v4, 2.0, -v5
	v_mul_f16_sdwa v5, v13, v19 dst_sel:DWORD dst_unused:UNUSED_PAD src0_sel:DWORD src1_sel:WORD_1
	v_mul_f16_sdwa v14, v12, v19 dst_sel:DWORD dst_unused:UNUSED_PAD src0_sel:DWORD src1_sel:WORD_1
	v_fma_f16 v5, v19, v12, v5
	v_fma_f16 v14, v19, v13, -v14
	v_mul_f16_e32 v12, v4, v5
	v_fma_f16 v19, v0, v14, -v12
	v_mul_f16_e32 v0, v0, v5
	v_fma_f16 v14, v4, v14, v0
	v_mad_u64_u32 v[4:5], s[2:3], s10, v10, 0
	v_mov_b32_e32 v0, v5
	v_mad_u64_u32 v[12:13], s[2:3], s11, v10, v[0:1]
	v_mov_b32_e32 v5, v12
	;; [unrolled: 2-line block ×4, first 2 shown]
	v_lshl_add_u64 v[2:3], v[4:5], 2, v[2:3]
	v_lshl_add_u64 v[4:5], v[12:13], 2, v[2:3]
	v_pack_b32_f16 v0, v14, v19
	global_store_dword v[4:5], v0, off
	v_mad_u64_u32 v[4:5], s[0:1], s8, v9, 0
	v_mov_b32_e32 v0, v5
	v_mad_u64_u32 v[10:11], s[0:1], s9, v9, v[0:1]
	v_mov_b32_e32 v5, v10
	v_lshl_add_u64 v[4:5], v[4:5], 2, v[2:3]
	v_pack_b32_f16 v0, v15, v21
	global_store_dword v[4:5], v0, off
	v_mad_u64_u32 v[4:5], s[0:1], s8, v8, 0
	v_mov_b32_e32 v0, v5
	v_mad_u64_u32 v[8:9], s[0:1], s9, v8, v[0:1]
	v_mov_b32_e32 v5, v8
	;; [unrolled: 7-line block ×7, first 2 shown]
	v_lshl_add_u64 v[0:1], v[4:5], 2, v[2:3]
	v_pack_b32_f16 v2, v18, v24
	global_store_dword v[0:1], v2, off
.LBB0_19:
	s_endpgm
	.section	.rodata,"a",@progbits
	.p2align	6, 0x0
	.amdhsa_kernel fft_rtc_back_len128_factors_16_8_wgs_256_tpt_16_half_op_CI_CI_sbcc_twdbase8_3step_dirReg
		.amdhsa_group_segment_fixed_size 0
		.amdhsa_private_segment_fixed_size 0
		.amdhsa_kernarg_size 112
		.amdhsa_user_sgpr_count 2
		.amdhsa_user_sgpr_dispatch_ptr 0
		.amdhsa_user_sgpr_queue_ptr 0
		.amdhsa_user_sgpr_kernarg_segment_ptr 1
		.amdhsa_user_sgpr_dispatch_id 0
		.amdhsa_user_sgpr_kernarg_preload_length 0
		.amdhsa_user_sgpr_kernarg_preload_offset 0
		.amdhsa_user_sgpr_private_segment_size 0
		.amdhsa_uses_dynamic_stack 0
		.amdhsa_enable_private_segment 0
		.amdhsa_system_sgpr_workgroup_id_x 1
		.amdhsa_system_sgpr_workgroup_id_y 0
		.amdhsa_system_sgpr_workgroup_id_z 0
		.amdhsa_system_sgpr_workgroup_info 0
		.amdhsa_system_vgpr_workitem_id 0
		.amdhsa_next_free_vgpr 57
		.amdhsa_next_free_sgpr 53
		.amdhsa_accum_offset 60
		.amdhsa_reserve_vcc 1
		.amdhsa_float_round_mode_32 0
		.amdhsa_float_round_mode_16_64 0
		.amdhsa_float_denorm_mode_32 3
		.amdhsa_float_denorm_mode_16_64 3
		.amdhsa_dx10_clamp 1
		.amdhsa_ieee_mode 1
		.amdhsa_fp16_overflow 0
		.amdhsa_tg_split 0
		.amdhsa_exception_fp_ieee_invalid_op 0
		.amdhsa_exception_fp_denorm_src 0
		.amdhsa_exception_fp_ieee_div_zero 0
		.amdhsa_exception_fp_ieee_overflow 0
		.amdhsa_exception_fp_ieee_underflow 0
		.amdhsa_exception_fp_ieee_inexact 0
		.amdhsa_exception_int_div_zero 0
	.end_amdhsa_kernel
	.text
.Lfunc_end0:
	.size	fft_rtc_back_len128_factors_16_8_wgs_256_tpt_16_half_op_CI_CI_sbcc_twdbase8_3step_dirReg, .Lfunc_end0-fft_rtc_back_len128_factors_16_8_wgs_256_tpt_16_half_op_CI_CI_sbcc_twdbase8_3step_dirReg
                                        ; -- End function
	.section	.AMDGPU.csdata,"",@progbits
; Kernel info:
; codeLenInByte = 6700
; NumSgprs: 59
; NumVgprs: 57
; NumAgprs: 0
; TotalNumVgprs: 57
; ScratchSize: 0
; MemoryBound: 0
; FloatMode: 240
; IeeeMode: 1
; LDSByteSize: 0 bytes/workgroup (compile time only)
; SGPRBlocks: 7
; VGPRBlocks: 7
; NumSGPRsForWavesPerEU: 59
; NumVGPRsForWavesPerEU: 57
; AccumOffset: 60
; Occupancy: 8
; WaveLimiterHint : 1
; COMPUTE_PGM_RSRC2:SCRATCH_EN: 0
; COMPUTE_PGM_RSRC2:USER_SGPR: 2
; COMPUTE_PGM_RSRC2:TRAP_HANDLER: 0
; COMPUTE_PGM_RSRC2:TGID_X_EN: 1
; COMPUTE_PGM_RSRC2:TGID_Y_EN: 0
; COMPUTE_PGM_RSRC2:TGID_Z_EN: 0
; COMPUTE_PGM_RSRC2:TIDIG_COMP_CNT: 0
; COMPUTE_PGM_RSRC3_GFX90A:ACCUM_OFFSET: 14
; COMPUTE_PGM_RSRC3_GFX90A:TG_SPLIT: 0
	.text
	.p2alignl 6, 3212836864
	.fill 256, 4, 3212836864
	.type	__hip_cuid_4ea65da4bcb37918,@object ; @__hip_cuid_4ea65da4bcb37918
	.section	.bss,"aw",@nobits
	.globl	__hip_cuid_4ea65da4bcb37918
__hip_cuid_4ea65da4bcb37918:
	.byte	0                               ; 0x0
	.size	__hip_cuid_4ea65da4bcb37918, 1

	.ident	"AMD clang version 19.0.0git (https://github.com/RadeonOpenCompute/llvm-project roc-6.4.0 25133 c7fe45cf4b819c5991fe208aaa96edf142730f1d)"
	.section	".note.GNU-stack","",@progbits
	.addrsig
	.addrsig_sym __hip_cuid_4ea65da4bcb37918
	.amdgpu_metadata
---
amdhsa.kernels:
  - .agpr_count:     0
    .args:
      - .actual_access:  read_only
        .address_space:  global
        .offset:         0
        .size:           8
        .value_kind:     global_buffer
      - .address_space:  global
        .offset:         8
        .size:           8
        .value_kind:     global_buffer
      - .offset:         16
        .size:           8
        .value_kind:     by_value
      - .actual_access:  read_only
        .address_space:  global
        .offset:         24
        .size:           8
        .value_kind:     global_buffer
      - .actual_access:  read_only
        .address_space:  global
        .offset:         32
        .size:           8
        .value_kind:     global_buffer
      - .actual_access:  read_only
        .address_space:  global
        .offset:         40
        .size:           8
        .value_kind:     global_buffer
      - .offset:         48
        .size:           8
        .value_kind:     by_value
      - .actual_access:  read_only
        .address_space:  global
        .offset:         56
        .size:           8
        .value_kind:     global_buffer
      - .actual_access:  read_only
        .address_space:  global
        .offset:         64
        .size:           8
        .value_kind:     global_buffer
      - .offset:         72
        .size:           4
        .value_kind:     by_value
      - .actual_access:  read_only
        .address_space:  global
        .offset:         80
        .size:           8
        .value_kind:     global_buffer
      - .actual_access:  read_only
        .address_space:  global
        .offset:         88
        .size:           8
        .value_kind:     global_buffer
      - .actual_access:  read_only
        .address_space:  global
        .offset:         96
        .size:           8
        .value_kind:     global_buffer
      - .actual_access:  write_only
        .address_space:  global
        .offset:         104
        .size:           8
        .value_kind:     global_buffer
    .group_segment_fixed_size: 0
    .kernarg_segment_align: 8
    .kernarg_segment_size: 112
    .language:       OpenCL C
    .language_version:
      - 2
      - 0
    .max_flat_workgroup_size: 256
    .name:           fft_rtc_back_len128_factors_16_8_wgs_256_tpt_16_half_op_CI_CI_sbcc_twdbase8_3step_dirReg
    .private_segment_fixed_size: 0
    .sgpr_count:     59
    .sgpr_spill_count: 0
    .symbol:         fft_rtc_back_len128_factors_16_8_wgs_256_tpt_16_half_op_CI_CI_sbcc_twdbase8_3step_dirReg.kd
    .uniform_work_group_size: 1
    .uses_dynamic_stack: false
    .vgpr_count:     57
    .vgpr_spill_count: 0
    .wavefront_size: 64
amdhsa.target:   amdgcn-amd-amdhsa--gfx950
amdhsa.version:
  - 1
  - 2
...

	.end_amdgpu_metadata
